;; amdgpu-corpus repo=ROCm/rocFFT kind=compiled arch=gfx906 opt=O3
	.text
	.amdgcn_target "amdgcn-amd-amdhsa--gfx906"
	.amdhsa_code_object_version 6
	.protected	fft_rtc_back_len1323_factors_3_3_3_7_7_wgs_189_tpt_189_dp_ip_CI_unitstride_sbrr_dirReg ; -- Begin function fft_rtc_back_len1323_factors_3_3_3_7_7_wgs_189_tpt_189_dp_ip_CI_unitstride_sbrr_dirReg
	.globl	fft_rtc_back_len1323_factors_3_3_3_7_7_wgs_189_tpt_189_dp_ip_CI_unitstride_sbrr_dirReg
	.p2align	8
	.type	fft_rtc_back_len1323_factors_3_3_3_7_7_wgs_189_tpt_189_dp_ip_CI_unitstride_sbrr_dirReg,@function
fft_rtc_back_len1323_factors_3_3_3_7_7_wgs_189_tpt_189_dp_ip_CI_unitstride_sbrr_dirReg: ; @fft_rtc_back_len1323_factors_3_3_3_7_7_wgs_189_tpt_189_dp_ip_CI_unitstride_sbrr_dirReg
; %bb.0:
	s_load_dwordx2 s[2:3], s[4:5], 0x50
	s_load_dwordx4 s[8:11], s[4:5], 0x0
	s_load_dwordx2 s[12:13], s[4:5], 0x18
	v_mul_u32_u24_e32 v1, 0x15b, v0
	v_add_u32_sdwa v5, s6, v1 dst_sel:DWORD dst_unused:UNUSED_PAD src0_sel:DWORD src1_sel:WORD_1
	v_mov_b32_e32 v3, 0
	s_waitcnt lgkmcnt(0)
	v_cmp_lt_u64_e64 s[0:1], s[10:11], 2
	v_mov_b32_e32 v1, 0
	v_mov_b32_e32 v6, v3
	s_and_b64 vcc, exec, s[0:1]
	v_mov_b32_e32 v2, 0
	s_cbranch_vccnz .LBB0_8
; %bb.1:
	s_load_dwordx2 s[0:1], s[4:5], 0x10
	s_add_u32 s6, s12, 8
	s_addc_u32 s7, s13, 0
	v_mov_b32_e32 v1, 0
	v_mov_b32_e32 v2, 0
	s_waitcnt lgkmcnt(0)
	s_add_u32 s14, s0, 8
	s_addc_u32 s15, s1, 0
	s_mov_b64 s[16:17], 1
.LBB0_2:                                ; =>This Inner Loop Header: Depth=1
	s_load_dwordx2 s[18:19], s[14:15], 0x0
                                        ; implicit-def: $vgpr7_vgpr8
	s_waitcnt lgkmcnt(0)
	v_or_b32_e32 v4, s19, v6
	v_cmp_ne_u64_e32 vcc, 0, v[3:4]
	s_and_saveexec_b64 s[0:1], vcc
	s_xor_b64 s[20:21], exec, s[0:1]
	s_cbranch_execz .LBB0_4
; %bb.3:                                ;   in Loop: Header=BB0_2 Depth=1
	v_cvt_f32_u32_e32 v4, s18
	v_cvt_f32_u32_e32 v7, s19
	s_sub_u32 s0, 0, s18
	s_subb_u32 s1, 0, s19
	v_mac_f32_e32 v4, 0x4f800000, v7
	v_rcp_f32_e32 v4, v4
	v_mul_f32_e32 v4, 0x5f7ffffc, v4
	v_mul_f32_e32 v7, 0x2f800000, v4
	v_trunc_f32_e32 v7, v7
	v_mac_f32_e32 v4, 0xcf800000, v7
	v_cvt_u32_f32_e32 v7, v7
	v_cvt_u32_f32_e32 v4, v4
	v_mul_lo_u32 v8, s0, v7
	v_mul_hi_u32 v9, s0, v4
	v_mul_lo_u32 v11, s1, v4
	v_mul_lo_u32 v10, s0, v4
	v_add_u32_e32 v8, v9, v8
	v_add_u32_e32 v8, v8, v11
	v_mul_hi_u32 v9, v4, v10
	v_mul_lo_u32 v11, v4, v8
	v_mul_hi_u32 v13, v4, v8
	v_mul_hi_u32 v12, v7, v10
	v_mul_lo_u32 v10, v7, v10
	v_mul_hi_u32 v14, v7, v8
	v_add_co_u32_e32 v9, vcc, v9, v11
	v_addc_co_u32_e32 v11, vcc, 0, v13, vcc
	v_mul_lo_u32 v8, v7, v8
	v_add_co_u32_e32 v9, vcc, v9, v10
	v_addc_co_u32_e32 v9, vcc, v11, v12, vcc
	v_addc_co_u32_e32 v10, vcc, 0, v14, vcc
	v_add_co_u32_e32 v8, vcc, v9, v8
	v_addc_co_u32_e32 v9, vcc, 0, v10, vcc
	v_add_co_u32_e32 v4, vcc, v4, v8
	v_addc_co_u32_e32 v7, vcc, v7, v9, vcc
	v_mul_lo_u32 v8, s0, v7
	v_mul_hi_u32 v9, s0, v4
	v_mul_lo_u32 v10, s1, v4
	v_mul_lo_u32 v11, s0, v4
	v_add_u32_e32 v8, v9, v8
	v_add_u32_e32 v8, v8, v10
	v_mul_lo_u32 v12, v4, v8
	v_mul_hi_u32 v13, v4, v11
	v_mul_hi_u32 v14, v4, v8
	;; [unrolled: 1-line block ×3, first 2 shown]
	v_mul_lo_u32 v11, v7, v11
	v_mul_hi_u32 v9, v7, v8
	v_add_co_u32_e32 v12, vcc, v13, v12
	v_addc_co_u32_e32 v13, vcc, 0, v14, vcc
	v_mul_lo_u32 v8, v7, v8
	v_add_co_u32_e32 v11, vcc, v12, v11
	v_addc_co_u32_e32 v10, vcc, v13, v10, vcc
	v_addc_co_u32_e32 v9, vcc, 0, v9, vcc
	v_add_co_u32_e32 v8, vcc, v10, v8
	v_addc_co_u32_e32 v9, vcc, 0, v9, vcc
	v_add_co_u32_e32 v4, vcc, v4, v8
	v_addc_co_u32_e32 v9, vcc, v7, v9, vcc
	v_mad_u64_u32 v[7:8], s[0:1], v5, v9, 0
	v_mul_hi_u32 v10, v5, v4
	v_add_co_u32_e32 v11, vcc, v10, v7
	v_addc_co_u32_e32 v12, vcc, 0, v8, vcc
	v_mad_u64_u32 v[7:8], s[0:1], v6, v4, 0
	v_mad_u64_u32 v[9:10], s[0:1], v6, v9, 0
	v_add_co_u32_e32 v4, vcc, v11, v7
	v_addc_co_u32_e32 v4, vcc, v12, v8, vcc
	v_addc_co_u32_e32 v7, vcc, 0, v10, vcc
	v_add_co_u32_e32 v4, vcc, v4, v9
	v_addc_co_u32_e32 v9, vcc, 0, v7, vcc
	v_mul_lo_u32 v10, s19, v4
	v_mul_lo_u32 v11, s18, v9
	v_mad_u64_u32 v[7:8], s[0:1], s18, v4, 0
	v_add3_u32 v8, v8, v11, v10
	v_sub_u32_e32 v10, v6, v8
	v_mov_b32_e32 v11, s19
	v_sub_co_u32_e32 v7, vcc, v5, v7
	v_subb_co_u32_e64 v10, s[0:1], v10, v11, vcc
	v_subrev_co_u32_e64 v11, s[0:1], s18, v7
	v_subbrev_co_u32_e64 v10, s[0:1], 0, v10, s[0:1]
	v_cmp_le_u32_e64 s[0:1], s19, v10
	v_cndmask_b32_e64 v12, 0, -1, s[0:1]
	v_cmp_le_u32_e64 s[0:1], s18, v11
	v_cndmask_b32_e64 v11, 0, -1, s[0:1]
	v_cmp_eq_u32_e64 s[0:1], s19, v10
	v_cndmask_b32_e64 v10, v12, v11, s[0:1]
	v_add_co_u32_e64 v11, s[0:1], 2, v4
	v_addc_co_u32_e64 v12, s[0:1], 0, v9, s[0:1]
	v_add_co_u32_e64 v13, s[0:1], 1, v4
	v_addc_co_u32_e64 v14, s[0:1], 0, v9, s[0:1]
	v_subb_co_u32_e32 v8, vcc, v6, v8, vcc
	v_cmp_ne_u32_e64 s[0:1], 0, v10
	v_cmp_le_u32_e32 vcc, s19, v8
	v_cndmask_b32_e64 v10, v14, v12, s[0:1]
	v_cndmask_b32_e64 v12, 0, -1, vcc
	v_cmp_le_u32_e32 vcc, s18, v7
	v_cndmask_b32_e64 v7, 0, -1, vcc
	v_cmp_eq_u32_e32 vcc, s19, v8
	v_cndmask_b32_e32 v7, v12, v7, vcc
	v_cmp_ne_u32_e32 vcc, 0, v7
	v_cndmask_b32_e64 v7, v13, v11, s[0:1]
	v_cndmask_b32_e32 v8, v9, v10, vcc
	v_cndmask_b32_e32 v7, v4, v7, vcc
.LBB0_4:                                ;   in Loop: Header=BB0_2 Depth=1
	s_andn2_saveexec_b64 s[0:1], s[20:21]
	s_cbranch_execz .LBB0_6
; %bb.5:                                ;   in Loop: Header=BB0_2 Depth=1
	v_cvt_f32_u32_e32 v4, s18
	s_sub_i32 s20, 0, s18
	v_rcp_iflag_f32_e32 v4, v4
	v_mul_f32_e32 v4, 0x4f7ffffe, v4
	v_cvt_u32_f32_e32 v4, v4
	v_mul_lo_u32 v7, s20, v4
	v_mul_hi_u32 v7, v4, v7
	v_add_u32_e32 v4, v4, v7
	v_mul_hi_u32 v4, v5, v4
	v_mul_lo_u32 v7, v4, s18
	v_add_u32_e32 v8, 1, v4
	v_sub_u32_e32 v7, v5, v7
	v_subrev_u32_e32 v9, s18, v7
	v_cmp_le_u32_e32 vcc, s18, v7
	v_cndmask_b32_e32 v7, v7, v9, vcc
	v_cndmask_b32_e32 v4, v4, v8, vcc
	v_add_u32_e32 v8, 1, v4
	v_cmp_le_u32_e32 vcc, s18, v7
	v_cndmask_b32_e32 v7, v4, v8, vcc
	v_mov_b32_e32 v8, v3
.LBB0_6:                                ;   in Loop: Header=BB0_2 Depth=1
	s_or_b64 exec, exec, s[0:1]
	v_mul_lo_u32 v4, v8, s18
	v_mul_lo_u32 v11, v7, s19
	v_mad_u64_u32 v[9:10], s[0:1], v7, s18, 0
	s_load_dwordx2 s[0:1], s[6:7], 0x0
	s_add_u32 s16, s16, 1
	v_add3_u32 v4, v10, v11, v4
	v_sub_co_u32_e32 v5, vcc, v5, v9
	v_subb_co_u32_e32 v4, vcc, v6, v4, vcc
	s_waitcnt lgkmcnt(0)
	v_mul_lo_u32 v4, s0, v4
	v_mul_lo_u32 v6, s1, v5
	v_mad_u64_u32 v[1:2], s[0:1], s0, v5, v[1:2]
	s_addc_u32 s17, s17, 0
	s_add_u32 s6, s6, 8
	v_add3_u32 v2, v6, v2, v4
	v_mov_b32_e32 v4, s10
	v_mov_b32_e32 v5, s11
	s_addc_u32 s7, s7, 0
	v_cmp_ge_u64_e32 vcc, s[16:17], v[4:5]
	s_add_u32 s14, s14, 8
	s_addc_u32 s15, s15, 0
	s_cbranch_vccnz .LBB0_9
; %bb.7:                                ;   in Loop: Header=BB0_2 Depth=1
	v_mov_b32_e32 v5, v7
	v_mov_b32_e32 v6, v8
	s_branch .LBB0_2
.LBB0_8:
	v_mov_b32_e32 v8, v6
	v_mov_b32_e32 v7, v5
.LBB0_9:
	s_lshl_b64 s[0:1], s[10:11], 3
	s_add_u32 s0, s12, s0
	s_addc_u32 s1, s13, s1
	s_load_dwordx2 s[6:7], s[0:1], 0x0
	s_load_dwordx2 s[10:11], s[4:5], 0x20
	v_mov_b32_e32 v38, 0
                                        ; implicit-def: $vgpr26_vgpr27
                                        ; implicit-def: $vgpr22_vgpr23
                                        ; implicit-def: $vgpr14_vgpr15
                                        ; implicit-def: $vgpr10_vgpr11
                                        ; implicit-def: $vgpr18_vgpr19
                                        ; implicit-def: $vgpr30_vgpr31
                                        ; implicit-def: $vgpr34_vgpr35
	s_waitcnt lgkmcnt(0)
	v_mad_u64_u32 v[1:2], s[0:1], s6, v7, v[1:2]
	v_mul_lo_u32 v3, s6, v8
	v_mul_lo_u32 v4, s7, v7
	s_mov_b32 s0, 0x15ac057
	v_mul_hi_u32 v5, v0, s0
	v_cmp_gt_u64_e64 s[0:1], s[10:11], v[7:8]
	v_add3_u32 v2, v4, v2, v3
	v_lshlrev_b64 v[36:37], 4, v[1:2]
	v_mul_u32_u24_e32 v3, 0xbd, v5
	v_sub_u32_e32 v39, v0, v3
                                        ; implicit-def: $vgpr2_vgpr3
                                        ; implicit-def: $vgpr6_vgpr7
	s_and_saveexec_b64 s[4:5], s[0:1]
	s_cbranch_execz .LBB0_13
; %bb.10:
	v_mov_b32_e32 v40, 0
	v_mov_b32_e32 v0, s3
	v_add_co_u32_e32 v2, vcc, s2, v36
	v_addc_co_u32_e32 v3, vcc, v0, v37, vcc
	v_lshlrev_b64 v[0:1], 4, v[39:40]
                                        ; implicit-def: $vgpr20_vgpr21
                                        ; implicit-def: $vgpr24_vgpr25
	v_add_co_u32_e32 v26, vcc, v2, v0
	v_addc_co_u32_e32 v27, vcc, v3, v1, vcc
	v_add_co_u32_e32 v0, vcc, 0x1000, v26
	v_addc_co_u32_e32 v1, vcc, 0, v27, vcc
	;; [unrolled: 2-line block ×4, first 2 shown]
	v_add_co_u32_e32 v14, vcc, 0x4000, v26
	global_load_dwordx4 v[28:31], v[0:1], off offset:2960
	global_load_dwordx4 v[16:19], v[2:3], off offset:1824
	v_addc_co_u32_e32 v15, vcc, 0, v27, vcc
	global_load_dwordx4 v[4:7], v[12:13], off offset:1888
	global_load_dwordx4 v[0:3], v[14:15], off offset:752
	global_load_dwordx4 v[32:35], v[26:27], off
	global_load_dwordx4 v[8:11], v[26:27], off offset:3024
	v_cmp_gt_u32_e32 vcc, 63, v39
                                        ; implicit-def: $vgpr12_vgpr13
	s_and_saveexec_b64 s[6:7], vcc
	s_cbranch_execz .LBB0_12
; %bb.11:
	v_add_co_u32_e32 v24, vcc, 0x1000, v26
	v_addc_co_u32_e32 v25, vcc, 0, v27, vcc
	v_add_co_u32_e32 v40, vcc, 0x3000, v26
	v_addc_co_u32_e32 v41, vcc, 0, v27, vcc
	global_load_dwordx4 v[12:15], v[24:25], off offset:1952
	global_load_dwordx4 v[20:23], v[40:41], off offset:816
	v_add_co_u32_e32 v24, vcc, 0x4000, v26
	v_addc_co_u32_e32 v25, vcc, 0, v27, vcc
	global_load_dwordx4 v[24:27], v[24:25], off offset:3776
.LBB0_12:
	s_or_b64 exec, exec, s[6:7]
	v_mov_b32_e32 v38, v39
.LBB0_13:
	s_or_b64 exec, exec, s[4:5]
	s_waitcnt vmcnt(4)
	v_add_f64 v[40:41], v[16:17], v[28:29]
	v_add_f64 v[42:43], v[18:19], v[30:31]
	s_waitcnt vmcnt(1)
	v_add_f64 v[44:45], v[28:29], v[32:33]
	v_add_f64 v[46:47], v[30:31], v[34:35]
	v_add_f64 v[30:31], v[30:31], -v[18:19]
	v_add_f64 v[48:49], v[28:29], -v[16:17]
	s_mov_b32 s4, 0xe8584caa
	s_mov_b32 s5, 0xbfebb67a
	v_fma_f64 v[32:33], v[40:41], -0.5, v[32:33]
	v_fma_f64 v[34:35], v[42:43], -0.5, v[34:35]
	s_mov_b32 s7, 0x3febb67a
	s_mov_b32 s6, s4
	v_add_f64 v[40:41], v[0:1], v[4:5]
	v_add_f64 v[16:17], v[16:17], v[44:45]
	;; [unrolled: 1-line block ×4, first 2 shown]
	v_fma_f64 v[28:29], v[30:31], s[4:5], v[32:33]
	v_fma_f64 v[32:33], v[30:31], s[6:7], v[32:33]
	;; [unrolled: 1-line block ×3, first 2 shown]
	s_waitcnt vmcnt(0)
	v_add_f64 v[44:45], v[4:5], v[8:9]
	v_add_f64 v[46:47], v[6:7], v[10:11]
	v_fma_f64 v[34:35], v[48:49], s[4:5], v[34:35]
	v_add_f64 v[48:49], v[24:25], v[20:21]
	v_add_f64 v[50:51], v[26:27], v[22:23]
	v_fma_f64 v[8:9], v[40:41], -0.5, v[8:9]
	v_add_f64 v[6:7], v[6:7], -v[2:3]
	v_fma_f64 v[10:11], v[42:43], -0.5, v[10:11]
	v_add_f64 v[4:5], v[4:5], -v[0:1]
	v_add_f64 v[41:42], v[0:1], v[44:45]
	v_add_f64 v[43:44], v[2:3], v[46:47]
	;; [unrolled: 1-line block ×3, first 2 shown]
	v_fma_f64 v[52:53], v[48:49], -0.5, v[12:13]
	v_add_f64 v[2:3], v[22:23], v[14:15]
	v_add_f64 v[22:23], v[22:23], -v[26:27]
	v_fma_f64 v[49:50], v[50:51], -0.5, v[14:15]
	v_add_f64 v[20:21], v[20:21], -v[24:25]
	v_fma_f64 v[45:46], v[6:7], s[4:5], v[8:9]
	v_fma_f64 v[12:13], v[6:7], s[6:7], v[8:9]
	;; [unrolled: 1-line block ×4, first 2 shown]
	v_add_f64 v[0:1], v[24:25], v[0:1]
	v_add_f64 v[2:3], v[26:27], v[2:3]
	v_fma_f64 v[4:5], v[22:23], s[4:5], v[52:53]
	v_fma_f64 v[8:9], v[22:23], s[6:7], v[52:53]
	;; [unrolled: 1-line block ×4, first 2 shown]
	v_mad_u32_u24 v40, v39, 48, 0
	v_cmp_gt_u32_e32 vcc, 63, v39
	ds_write_b128 v40, v[16:19]
	ds_write_b128 v40, v[28:31] offset:16
	ds_write_b128 v40, v[32:35] offset:32
	;; [unrolled: 1-line block ×5, first 2 shown]
	s_and_saveexec_b64 s[4:5], vcc
	s_cbranch_execz .LBB0_15
; %bb.14:
	ds_write_b128 v40, v[0:3] offset:18144
	ds_write_b128 v40, v[4:7] offset:18160
	;; [unrolled: 1-line block ×3, first 2 shown]
.LBB0_15:
	s_or_b64 exec, exec, s[4:5]
	v_lshlrev_b32_e32 v41, 5, v39
	v_sub_u32_e32 v20, v40, v41
	s_waitcnt lgkmcnt(0)
	s_barrier
	ds_read_b128 v[16:19], v20
	ds_read_b128 v[12:15], v20 offset:3024
	ds_read_b128 v[32:35], v20 offset:7056
	;; [unrolled: 1-line block ×5, first 2 shown]
	v_sub_u32_e32 v41, 0, v41
	v_add_u32_e32 v40, v40, v41
	s_and_saveexec_b64 s[4:5], vcc
	s_cbranch_execz .LBB0_17
; %bb.16:
	ds_read_b128 v[0:3], v40 offset:6048
	ds_read_b128 v[4:7], v40 offset:13104
	;; [unrolled: 1-line block ×3, first 2 shown]
.LBB0_17:
	s_or_b64 exec, exec, s[4:5]
	s_movk_i32 s4, 0xab
	v_mul_lo_u16_sdwa v41, v39, s4 dst_sel:DWORD dst_unused:UNUSED_PAD src0_sel:BYTE_0 src1_sel:DWORD
	v_lshrrev_b16_e32 v58, 9, v41
	v_mul_lo_u16_e32 v41, 3, v58
	v_sub_u16_e32 v59, v39, v41
	v_mov_b32_e32 v41, 5
	v_lshlrev_b32_sdwa v41, v41, v59 dst_sel:DWORD dst_unused:UNUSED_PAD src0_sel:DWORD src1_sel:BYTE_0
	global_load_dwordx4 v[44:47], v41, s[8:9]
	global_load_dwordx4 v[48:51], v41, s[8:9] offset:16
	s_mov_b32 s4, 0xaaab
	v_add_u32_e32 v43, 0xbd, v39
	v_mul_u32_u24_sdwa v41, v43, s4 dst_sel:DWORD dst_unused:UNUSED_PAD src0_sel:WORD_0 src1_sel:DWORD
	v_lshrrev_b32_e32 v60, 17, v41
	v_mul_lo_u16_e32 v41, 3, v60
	v_sub_u16_e32 v61, v43, v41
	v_lshlrev_b32_e32 v62, 5, v61
	global_load_dwordx4 v[52:55], v62, s[8:9]
	v_mul_u32_u24_e32 v64, 0x90, v60
	s_waitcnt vmcnt(2) lgkmcnt(3)
	v_mul_f64 v[41:42], v[34:35], v[46:47]
	v_mul_f64 v[46:47], v[32:33], v[46:47]
	v_fma_f64 v[56:57], v[32:33], v[44:45], v[41:42]
	v_fma_f64 v[44:45], v[34:35], v[44:45], -v[46:47]
	global_load_dwordx4 v[32:35], v62, s[8:9] offset:16
	s_waitcnt vmcnt(2) lgkmcnt(1)
	v_mul_f64 v[41:42], v[30:31], v[50:51]
	v_mul_f64 v[46:47], v[28:29], v[50:51]
	v_fma_f64 v[50:51], v[28:29], v[48:49], v[41:42]
	v_fma_f64 v[30:31], v[30:31], v[48:49], -v[46:47]
	s_waitcnt vmcnt(1)
	v_mul_f64 v[46:47], v[26:27], v[54:55]
	v_mul_f64 v[48:49], v[24:25], v[54:55]
	v_add_u32_e32 v42, 0x17a, v39
	v_mul_u32_u24_sdwa v28, v42, s4 dst_sel:DWORD dst_unused:UNUSED_PAD src0_sel:WORD_0 src1_sel:DWORD
	v_lshrrev_b32_e32 v28, 17, v28
	v_mul_lo_u16_e32 v29, 3, v28
	v_sub_u16_e32 v29, v42, v29
	v_lshlrev_b32_e32 v41, 5, v29
	v_fma_f64 v[46:47], v[24:25], v[52:53], v[46:47]
	v_fma_f64 v[48:49], v[26:27], v[52:53], -v[48:49]
	global_load_dwordx4 v[24:27], v41, s[8:9]
	v_mul_u32_u24_e32 v54, 0x90, v58
	s_mov_b32 s4, 0xe8584caa
	s_mov_b32 s5, 0xbfebb67a
	;; [unrolled: 1-line block ×3, first 2 shown]
	s_waitcnt vmcnt(1) lgkmcnt(0)
	v_mul_f64 v[52:53], v[22:23], v[34:35]
	v_mul_f64 v[34:35], v[20:21], v[34:35]
	v_fma_f64 v[52:53], v[20:21], v[32:33], v[52:53]
	v_fma_f64 v[32:33], v[22:23], v[32:33], -v[34:35]
	global_load_dwordx4 v[20:23], v41, s[8:9] offset:16
	v_mov_b32_e32 v41, 4
	s_waitcnt vmcnt(0)
	s_barrier
	v_mul_f64 v[34:35], v[6:7], v[26:27]
	v_mul_f64 v[26:27], v[4:5], v[26:27]
	v_fma_f64 v[4:5], v[4:5], v[24:25], v[34:35]
	v_fma_f64 v[6:7], v[6:7], v[24:25], -v[26:27]
	v_lshlrev_b32_sdwa v26, v41, v59 dst_sel:DWORD dst_unused:UNUSED_PAD src0_sel:DWORD src1_sel:BYTE_0
	v_lshlrev_b32_e32 v41, 4, v61
	v_add3_u32 v65, 0, v54, v26
	v_add_f64 v[26:27], v[16:17], v[56:57]
	v_add_f64 v[34:35], v[44:45], -v[30:31]
	v_add_f64 v[54:55], v[46:47], v[52:53]
	v_add_f64 v[58:59], v[14:15], v[48:49]
	v_mul_f64 v[24:25], v[10:11], v[22:23]
	v_mul_f64 v[22:23], v[8:9], v[22:23]
	v_fma_f64 v[8:9], v[8:9], v[20:21], v[24:25]
	v_fma_f64 v[10:11], v[10:11], v[20:21], -v[22:23]
	v_add_f64 v[20:21], v[56:57], v[50:51]
	v_add_f64 v[22:23], v[44:45], v[30:31]
	;; [unrolled: 1-line block ×3, first 2 shown]
	v_add_f64 v[44:45], v[56:57], -v[50:51]
	v_add_f64 v[56:57], v[48:49], v[32:33]
	v_add_f64 v[48:49], v[48:49], -v[32:33]
	v_fma_f64 v[60:61], v[20:21], -0.5, v[16:17]
	v_fma_f64 v[62:63], v[22:23], -0.5, v[18:19]
	v_add_f64 v[20:21], v[12:13], v[46:47]
	v_add_f64 v[22:23], v[4:5], v[8:9]
	;; [unrolled: 1-line block ×4, first 2 shown]
	v_add_f64 v[46:47], v[46:47], -v[52:53]
	v_add_f64 v[16:17], v[26:27], v[50:51]
	v_add_f64 v[26:27], v[2:3], v[6:7]
	v_fma_f64 v[50:51], v[54:55], -0.5, v[12:13]
	v_fma_f64 v[54:55], v[56:57], -0.5, v[14:15]
	v_add_f64 v[30:31], v[0:1], v[4:5]
	v_add_f64 v[6:7], v[6:7], -v[10:11]
	v_add_f64 v[56:57], v[4:5], -v[8:9]
	v_add_f64 v[14:15], v[58:59], v[32:33]
	v_add_f64 v[12:13], v[20:21], v[52:53]
	v_fma_f64 v[52:53], v[22:23], -0.5, v[0:1]
	v_fma_f64 v[58:59], v[24:25], -0.5, v[2:3]
	v_add_f64 v[2:3], v[26:27], v[10:11]
	v_add_f64 v[0:1], v[30:31], v[8:9]
	v_fma_f64 v[20:21], v[34:35], s[4:5], v[60:61]
	v_fma_f64 v[22:23], v[44:45], s[6:7], v[62:63]
	;; [unrolled: 1-line block ×12, first 2 shown]
	v_add3_u32 v34, 0, v64, v41
	ds_write_b128 v65, v[16:19]
	ds_write_b128 v65, v[20:23] offset:48
	ds_write_b128 v65, v[24:27] offset:96
	ds_write_b128 v34, v[12:15]
	ds_write_b128 v34, v[30:33] offset:48
	ds_write_b128 v34, v[44:47] offset:96
	s_and_saveexec_b64 s[4:5], vcc
	s_cbranch_execz .LBB0_19
; %bb.18:
	v_mul_lo_u16_e32 v12, 9, v28
	v_lshlrev_b32_e32 v13, 4, v29
	v_lshlrev_b32_e32 v12, 4, v12
	v_add3_u32 v12, 0, v13, v12
	ds_write_b128 v12, v[0:3]
	ds_write_b128 v12, v[4:7] offset:48
	ds_write_b128 v12, v[8:11] offset:96
.LBB0_19:
	s_or_b64 exec, exec, s[4:5]
	s_waitcnt lgkmcnt(0)
	s_barrier
	ds_read_b128 v[16:19], v40
	ds_read_b128 v[12:15], v40 offset:3024
	ds_read_b128 v[32:35], v40 offset:7056
	;; [unrolled: 1-line block ×5, first 2 shown]
	v_lshl_add_u32 v41, v39, 4, 0
	s_and_saveexec_b64 s[4:5], vcc
	s_cbranch_execz .LBB0_21
; %bb.20:
	ds_read_b128 v[0:3], v41 offset:6048
	ds_read_b128 v[4:7], v40 offset:13104
	;; [unrolled: 1-line block ×3, first 2 shown]
.LBB0_21:
	s_or_b64 exec, exec, s[4:5]
	v_mov_b32_e32 v44, 57
	v_mul_lo_u16_sdwa v44, v39, v44 dst_sel:DWORD dst_unused:UNUSED_PAD src0_sel:BYTE_0 src1_sel:DWORD
	v_lshrrev_b16_e32 v58, 9, v44
	v_mul_lo_u16_e32 v44, 9, v58
	v_sub_u16_e32 v59, v39, v44
	v_mov_b32_e32 v44, 5
	v_lshlrev_b32_sdwa v52, v44, v59 dst_sel:DWORD dst_unused:UNUSED_PAD src0_sel:DWORD src1_sel:BYTE_0
	global_load_dwordx4 v[44:47], v52, s[8:9] offset:112
	global_load_dwordx4 v[48:51], v52, s[8:9] offset:96
	s_mov_b32 s12, 0xe38f
	s_mov_b32 s4, 0xe8584caa
	;; [unrolled: 1-line block ×4, first 2 shown]
	s_waitcnt vmcnt(0) lgkmcnt(3)
	v_mul_f64 v[52:53], v[34:35], v[50:51]
	v_fma_f64 v[52:53], v[32:33], v[48:49], v[52:53]
	v_mul_f64 v[32:33], v[32:33], v[50:51]
	v_fma_f64 v[48:49], v[34:35], v[48:49], -v[32:33]
	s_waitcnt lgkmcnt(1)
	v_mul_f64 v[32:33], v[30:31], v[46:47]
	v_fma_f64 v[50:51], v[28:29], v[44:45], v[32:33]
	v_mul_f64 v[28:29], v[28:29], v[46:47]
	v_fma_f64 v[44:45], v[30:31], v[44:45], -v[28:29]
	v_mul_u32_u24_sdwa v28, v43, s12 dst_sel:DWORD dst_unused:UNUSED_PAD src0_sel:WORD_0 src1_sel:DWORD
	v_lshrrev_b32_e32 v60, 19, v28
	v_mul_lo_u16_e32 v28, 9, v60
	v_sub_u16_e32 v61, v43, v28
	v_lshlrev_b32_e32 v43, 5, v61
	global_load_dwordx4 v[28:31], v43, s[8:9] offset:112
	global_load_dwordx4 v[32:35], v43, s[8:9] offset:96
	s_waitcnt vmcnt(0) lgkmcnt(0)
	s_barrier
	v_mul_f64 v[46:47], v[26:27], v[34:35]
	v_fma_f64 v[46:47], v[24:25], v[32:33], v[46:47]
	v_mul_f64 v[24:25], v[24:25], v[34:35]
	v_fma_f64 v[34:35], v[26:27], v[32:33], -v[24:25]
	v_mul_f64 v[24:25], v[22:23], v[30:31]
	v_add_f64 v[26:27], v[48:49], v[44:45]
	v_fma_f64 v[54:55], v[20:21], v[28:29], v[24:25]
	v_mul_f64 v[20:21], v[20:21], v[30:31]
	v_add_f64 v[24:25], v[48:49], -v[44:45]
	v_fma_f64 v[26:27], v[26:27], -0.5, v[18:19]
	v_add_f64 v[30:31], v[46:47], v[54:55]
	v_fma_f64 v[56:57], v[22:23], v[28:29], -v[20:21]
	v_add_f64 v[22:23], v[52:53], v[50:51]
	v_add_f64 v[28:29], v[52:53], -v[50:51]
	v_add_f64 v[20:21], v[16:17], v[52:53]
	v_fma_f64 v[22:23], v[22:23], -0.5, v[16:17]
	v_add_f64 v[20:21], v[20:21], v[50:51]
	v_fma_f64 v[16:17], v[24:25], s[4:5], v[22:23]
	v_fma_f64 v[24:25], v[24:25], s[6:7], v[22:23]
	v_add_f64 v[22:23], v[18:19], v[48:49]
	v_fma_f64 v[18:19], v[28:29], s[6:7], v[26:27]
	v_fma_f64 v[26:27], v[28:29], s[4:5], v[26:27]
	v_add_f64 v[28:29], v[12:13], v[46:47]
	v_fma_f64 v[12:13], v[30:31], -0.5, v[12:13]
	v_add_f64 v[30:31], v[34:35], -v[56:57]
	v_add_f64 v[22:23], v[22:23], v[44:45]
	v_add_f64 v[28:29], v[28:29], v[54:55]
	v_fma_f64 v[32:33], v[30:31], s[4:5], v[12:13]
	v_fma_f64 v[43:44], v[30:31], s[6:7], v[12:13]
	v_add_f64 v[12:13], v[14:15], v[34:35]
	v_add_f64 v[30:31], v[12:13], v[56:57]
	;; [unrolled: 1-line block ×3, first 2 shown]
	v_fma_f64 v[12:13], v[12:13], -0.5, v[14:15]
	v_add_f64 v[14:15], v[46:47], -v[54:55]
	v_fma_f64 v[34:35], v[14:15], s[6:7], v[12:13]
	v_fma_f64 v[45:46], v[14:15], s[4:5], v[12:13]
	v_mov_b32_e32 v12, 4
	v_mul_u32_u24_e32 v13, 0x1b0, v58
	v_lshlrev_b32_sdwa v14, v12, v59 dst_sel:DWORD dst_unused:UNUSED_PAD src0_sel:DWORD src1_sel:BYTE_0
	v_add3_u32 v13, 0, v13, v14
	ds_write_b128 v13, v[20:23]
	ds_write_b128 v13, v[16:19] offset:144
	ds_write_b128 v13, v[24:27] offset:288
	v_mul_u32_u24_e32 v13, 0x1b0, v60
	v_lshlrev_b32_e32 v14, 4, v61
	v_add3_u32 v13, 0, v13, v14
	ds_write_b128 v13, v[28:31]
	ds_write_b128 v13, v[32:35] offset:144
	ds_write_b128 v13, v[43:46] offset:288
	s_and_saveexec_b64 s[10:11], vcc
	s_cbranch_execz .LBB0_23
; %bb.22:
	v_mul_u32_u24_sdwa v13, v42, s12 dst_sel:DWORD dst_unused:UNUSED_PAD src0_sel:WORD_0 src1_sel:DWORD
	v_lshrrev_b32_e32 v25, 19, v13
	v_mul_lo_u16_e32 v13, 9, v25
	v_sub_u16_e32 v26, v42, v13
	v_lshlrev_b32_e32 v21, 5, v26
	global_load_dwordx4 v[13:16], v21, s[8:9] offset:96
	global_load_dwordx4 v[17:20], v21, s[8:9] offset:112
	s_waitcnt vmcnt(1)
	v_mul_f64 v[21:22], v[4:5], v[15:16]
	s_waitcnt vmcnt(0)
	v_mul_f64 v[23:24], v[8:9], v[19:20]
	v_mul_f64 v[15:16], v[6:7], v[15:16]
	;; [unrolled: 1-line block ×3, first 2 shown]
	v_fma_f64 v[6:7], v[6:7], v[13:14], -v[21:22]
	v_fma_f64 v[10:11], v[10:11], v[17:18], -v[23:24]
	v_fma_f64 v[4:5], v[4:5], v[13:14], v[15:16]
	v_fma_f64 v[8:9], v[8:9], v[17:18], v[19:20]
	v_add_f64 v[19:20], v[2:3], v[6:7]
	v_add_f64 v[13:14], v[6:7], v[10:11]
	v_add_f64 v[21:22], v[6:7], -v[10:11]
	v_add_f64 v[15:16], v[4:5], v[8:9]
	v_add_f64 v[17:18], v[4:5], -v[8:9]
	v_add_f64 v[4:5], v[0:1], v[4:5]
	v_fma_f64 v[13:14], v[13:14], -0.5, v[2:3]
	v_add_f64 v[2:3], v[19:20], v[10:11]
	v_fma_f64 v[15:16], v[15:16], -0.5, v[0:1]
	v_add_f64 v[0:1], v[4:5], v[8:9]
	v_fma_f64 v[10:11], v[17:18], s[6:7], v[13:14]
	v_fma_f64 v[6:7], v[17:18], s[4:5], v[13:14]
	;; [unrolled: 1-line block ×4, first 2 shown]
	v_mul_lo_u16_e32 v13, 27, v25
	v_lshlrev_b32_e32 v13, 4, v13
	v_lshlrev_b32_e32 v14, 4, v26
	v_add3_u32 v13, 0, v14, v13
	ds_write_b128 v13, v[0:3]
	ds_write_b128 v13, v[8:11] offset:144
	ds_write_b128 v13, v[4:7] offset:288
.LBB0_23:
	s_or_b64 exec, exec, s[10:11]
	v_mov_b32_e32 v0, 19
	v_mul_lo_u16_sdwa v0, v39, v0 dst_sel:DWORD dst_unused:UNUSED_PAD src0_sel:BYTE_0 src1_sel:DWORD
	v_lshrrev_b16_e32 v35, 9, v0
	v_mul_lo_u16_e32 v0, 27, v35
	v_sub_u16_e32 v58, v39, v0
	v_mov_b32_e32 v0, 6
	v_mul_u32_u24_sdwa v0, v58, v0 dst_sel:DWORD dst_unused:UNUSED_PAD src0_sel:BYTE_0 src1_sel:DWORD
	v_lshlrev_b32_e32 v25, 4, v0
	s_waitcnt lgkmcnt(0)
	s_barrier
	global_load_dwordx4 v[0:3], v25, s[8:9] offset:384
	global_load_dwordx4 v[4:7], v25, s[8:9] offset:400
	global_load_dwordx4 v[8:11], v25, s[8:9] offset:464
	global_load_dwordx4 v[13:16], v25, s[8:9] offset:416
	global_load_dwordx4 v[17:20], v25, s[8:9] offset:448
	global_load_dwordx4 v[21:24], v25, s[8:9] offset:432
	ds_read_b128 v[25:28], v40 offset:3024
	ds_read_b128 v[29:32], v40
	ds_read_b128 v[42:45], v41 offset:6048
	ds_read_b128 v[46:49], v40 offset:9072
	;; [unrolled: 1-line block ×3, first 2 shown]
	v_mul_u32_u24_e32 v35, 0xbd0, v35
	v_lshlrev_b32_sdwa v12, v12, v58 dst_sel:DWORD dst_unused:UNUSED_PAD src0_sel:DWORD src1_sel:BYTE_0
	s_mov_b32 s4, 0x37e14327
	s_mov_b32 s14, 0xe976ee23
	;; [unrolled: 1-line block ×20, first 2 shown]
	s_waitcnt vmcnt(5) lgkmcnt(4)
	v_mul_f64 v[33:34], v[27:28], v[2:3]
	v_mul_f64 v[2:3], v[25:26], v[2:3]
	s_waitcnt vmcnt(4) lgkmcnt(2)
	v_mul_f64 v[56:57], v[44:45], v[6:7]
	v_mul_f64 v[6:7], v[42:43], v[6:7]
	v_fma_f64 v[33:34], v[25:26], v[0:1], v[33:34]
	v_fma_f64 v[54:55], v[27:28], v[0:1], -v[2:3]
	ds_read_b128 v[0:3], v40 offset:15120
	ds_read_b128 v[25:28], v40 offset:18144
	v_fma_f64 v[42:43], v[42:43], v[4:5], v[56:57]
	v_fma_f64 v[4:5], v[44:45], v[4:5], -v[6:7]
	s_waitcnt vmcnt(2) lgkmcnt(3)
	v_mul_f64 v[44:45], v[48:49], v[15:16]
	v_mul_f64 v[15:16], v[46:47], v[15:16]
	s_waitcnt lgkmcnt(0)
	v_mul_f64 v[6:7], v[27:28], v[10:11]
	v_mul_f64 v[10:11], v[25:26], v[10:11]
	v_add3_u32 v56, 0, v35, v12
	s_waitcnt vmcnt(0)
	s_barrier
	v_fma_f64 v[6:7], v[25:26], v[8:9], v[6:7]
	v_fma_f64 v[8:9], v[27:28], v[8:9], -v[10:11]
	v_mul_f64 v[10:11], v[2:3], v[19:20]
	v_mul_f64 v[19:20], v[0:1], v[19:20]
	;; [unrolled: 1-line block ×4, first 2 shown]
	v_fma_f64 v[27:28], v[46:47], v[13:14], v[44:45]
	v_fma_f64 v[12:13], v[48:49], v[13:14], -v[15:16]
	v_fma_f64 v[0:1], v[0:1], v[17:18], v[10:11]
	v_fma_f64 v[2:3], v[2:3], v[17:18], -v[19:20]
	;; [unrolled: 2-line block ×3, first 2 shown]
	v_add_f64 v[16:17], v[33:34], v[6:7]
	v_add_f64 v[18:19], v[54:55], v[8:9]
	v_add_f64 v[6:7], v[33:34], -v[6:7]
	v_add_f64 v[8:9], v[54:55], -v[8:9]
	v_add_f64 v[20:21], v[42:43], v[0:1]
	v_add_f64 v[22:23], v[4:5], v[2:3]
	v_add_f64 v[0:1], v[42:43], -v[0:1]
	v_add_f64 v[2:3], v[4:5], -v[2:3]
	;; [unrolled: 4-line block ×4, first 2 shown]
	v_add_f64 v[16:17], v[16:17], -v[4:5]
	v_add_f64 v[18:19], v[18:19], -v[24:25]
	;; [unrolled: 1-line block ×3, first 2 shown]
	v_add_f64 v[44:45], v[10:11], v[0:1]
	v_add_f64 v[46:47], v[12:13], v[2:3]
	v_add_f64 v[48:49], v[10:11], -v[0:1]
	v_add_f64 v[50:51], v[12:13], -v[2:3]
	v_add_f64 v[4:5], v[4:5], v[14:15]
	v_add_f64 v[14:15], v[24:25], v[26:27]
	v_add_f64 v[52:53], v[0:1], -v[6:7]
	v_add_f64 v[54:55], v[2:3], -v[8:9]
	;; [unrolled: 1-line block ×5, first 2 shown]
	v_add_f64 v[6:7], v[44:45], v[6:7]
	v_add_f64 v[8:9], v[46:47], v[8:9]
	v_mul_f64 v[16:17], v[16:17], s[4:5]
	v_mul_f64 v[18:19], v[18:19], s[4:5]
	;; [unrolled: 1-line block ×4, first 2 shown]
	v_add_f64 v[0:1], v[29:30], v[4:5]
	v_add_f64 v[2:3], v[31:32], v[14:15]
	v_mul_f64 v[48:49], v[52:53], s[10:11]
	v_mul_f64 v[50:51], v[54:55], s[10:11]
	;; [unrolled: 1-line block ×4, first 2 shown]
	v_fma_f64 v[20:21], v[20:21], s[6:7], v[16:17]
	v_fma_f64 v[22:23], v[22:23], s[6:7], v[18:19]
	v_fma_f64 v[28:29], v[10:11], s[20:21], v[44:45]
	v_fma_f64 v[30:31], v[12:13], s[20:21], v[46:47]
	v_fma_f64 v[4:5], v[4:5], s[12:13], v[0:1]
	v_fma_f64 v[14:15], v[14:15], s[12:13], v[2:3]
	v_fma_f64 v[16:17], v[33:34], s[18:19], -v[16:17]
	v_fma_f64 v[18:19], v[42:43], s[18:19], -v[18:19]
	;; [unrolled: 1-line block ×8, first 2 shown]
	v_fma_f64 v[28:29], v[6:7], s[24:25], v[28:29]
	v_fma_f64 v[30:31], v[8:9], s[24:25], v[30:31]
	v_add_f64 v[46:47], v[20:21], v[4:5]
	v_add_f64 v[48:49], v[22:23], v[14:15]
	v_fma_f64 v[42:43], v[6:7], s[24:25], v[10:11]
	v_fma_f64 v[44:45], v[8:9], s[24:25], v[12:13]
	v_add_f64 v[20:21], v[16:17], v[4:5]
	v_add_f64 v[22:23], v[18:19], v[14:15]
	;; [unrolled: 4-line block ×3, first 2 shown]
	v_add_f64 v[4:5], v[30:31], v[46:47]
	v_add_f64 v[6:7], v[48:49], -v[28:29]
	v_add_f64 v[8:9], v[44:45], v[20:21]
	v_add_f64 v[10:11], v[22:23], -v[42:43]
	v_add_f64 v[20:21], v[20:21], -v[44:45]
	v_add_f64 v[22:23], v[42:43], v[22:23]
	v_add_f64 v[12:13], v[16:17], -v[34:35]
	v_add_f64 v[14:15], v[32:33], v[18:19]
	v_add_f64 v[16:17], v[34:35], v[16:17]
	v_add_f64 v[18:19], v[18:19], -v[32:33]
	v_add_f64 v[24:25], v[46:47], -v[30:31]
	v_add_f64 v[26:27], v[28:29], v[48:49]
	ds_write_b128 v56, v[0:3]
	ds_write_b128 v56, v[4:7] offset:432
	ds_write_b128 v56, v[8:11] offset:864
	;; [unrolled: 1-line block ×6, first 2 shown]
	s_waitcnt lgkmcnt(0)
	s_barrier
	s_and_saveexec_b64 s[26:27], s[0:1]
	s_cbranch_execz .LBB0_25
; %bb.24:
	v_mul_u32_u24_e32 v0, 6, v39
	v_lshlrev_b32_e32 v24, 4, v0
	global_load_dwordx4 v[0:3], v24, s[8:9] offset:3008
	global_load_dwordx4 v[4:7], v24, s[8:9] offset:3024
	;; [unrolled: 1-line block ×6, first 2 shown]
	ds_read_b128 v[24:27], v40 offset:12096
	ds_read_b128 v[28:31], v40 offset:9072
	;; [unrolled: 1-line block ×5, first 2 shown]
	v_mov_b32_e32 v39, 0
	v_mov_b32_e32 v49, s3
	v_add_co_u32_e32 v50, vcc, s2, v36
	v_addc_co_u32_e32 v49, vcc, v49, v37, vcc
	v_lshlrev_b64 v[36:37], 4, v[38:39]
	s_movk_i32 s0, 0x1000
	v_add_co_u32_e32 v53, vcc, v50, v36
	v_addc_co_u32_e32 v54, vcc, v49, v37, vcc
	ds_read_b128 v[36:39], v40 offset:3024
	ds_read_b128 v[49:52], v40
	v_add_co_u32_e32 v57, vcc, s0, v53
	s_movk_i32 s1, 0x2000
	v_addc_co_u32_e32 v58, vcc, 0, v54, vcc
	s_waitcnt vmcnt(5) lgkmcnt(5)
	v_mul_f64 v[55:56], v[2:3], v[30:31]
	v_mul_f64 v[2:3], v[28:29], v[2:3]
	v_fma_f64 v[28:29], v[0:1], v[28:29], v[55:56]
	v_fma_f64 v[0:1], v[0:1], v[30:31], -v[2:3]
	s_waitcnt vmcnt(4)
	v_mul_f64 v[2:3], v[6:7], v[26:27]
	v_mul_f64 v[6:7], v[24:25], v[6:7]
	s_waitcnt vmcnt(3) lgkmcnt(4)
	v_mul_f64 v[55:56], v[10:11], v[34:35]
	v_add_co_u32_e32 v30, vcc, s1, v53
	v_addc_co_u32_e32 v31, vcc, 0, v54, vcc
	v_fma_f64 v[2:3], v[4:5], v[24:25], v[2:3]
	v_fma_f64 v[4:5], v[4:5], v[26:27], -v[6:7]
	v_mul_f64 v[6:7], v[32:33], v[10:11]
	s_waitcnt vmcnt(2) lgkmcnt(3)
	v_mul_f64 v[10:11], v[14:15], v[43:44]
	s_waitcnt vmcnt(1) lgkmcnt(1)
	v_mul_f64 v[26:27], v[18:19], v[38:39]
	v_fma_f64 v[32:33], v[8:9], v[32:33], v[55:56]
	v_mul_f64 v[14:15], v[41:42], v[14:15]
	v_mul_f64 v[18:19], v[36:37], v[18:19]
	v_add_co_u32_e32 v24, vcc, 0x3000, v53
	v_fma_f64 v[6:7], v[8:9], v[34:35], -v[6:7]
	s_waitcnt vmcnt(0)
	v_mul_f64 v[8:9], v[22:23], v[47:48]
	v_mul_f64 v[22:23], v[45:46], v[22:23]
	v_fma_f64 v[10:11], v[12:13], v[41:42], v[10:11]
	v_fma_f64 v[26:27], v[16:17], v[36:37], v[26:27]
	v_fma_f64 v[12:13], v[12:13], v[43:44], -v[14:15]
	v_fma_f64 v[14:15], v[16:17], v[38:39], -v[18:19]
	v_add_f64 v[18:19], v[2:3], -v[28:29]
	v_add_f64 v[35:36], v[4:5], v[0:1]
	v_fma_f64 v[8:9], v[20:21], v[45:46], v[8:9]
	v_fma_f64 v[16:17], v[20:21], v[47:48], -v[22:23]
	v_add_f64 v[20:21], v[32:33], -v[10:11]
	v_add_f64 v[10:11], v[32:33], v[10:11]
	v_add_f64 v[37:38], v[6:7], v[12:13]
	;; [unrolled: 1-line block ×3, first 2 shown]
	v_add_f64 v[0:1], v[4:5], -v[0:1]
	v_add_f64 v[4:5], v[6:7], -v[12:13]
	;; [unrolled: 1-line block ×3, first 2 shown]
	v_add_f64 v[39:40], v[14:15], v[16:17]
	v_add_f64 v[8:9], v[26:27], v[8:9]
	;; [unrolled: 1-line block ×3, first 2 shown]
	v_add_f64 v[6:7], v[14:15], -v[16:17]
	v_add_f64 v[14:15], v[18:19], -v[20:21]
	;; [unrolled: 1-line block ×6, first 2 shown]
	v_add_f64 v[28:29], v[37:38], v[39:40]
	v_add_f64 v[43:44], v[10:11], v[8:9]
	v_add_f64 v[18:19], v[35:36], -v[37:38]
	v_add_f64 v[41:42], v[8:9], -v[2:3]
	;; [unrolled: 1-line block ×5, first 2 shown]
	v_add_f64 v[10:11], v[12:13], v[22:23]
	v_mul_f64 v[22:23], v[26:27], s[4:5]
	v_add_f64 v[26:27], v[35:36], v[28:29]
	v_add_f64 v[39:40], v[2:3], v[43:44]
	;; [unrolled: 1-line block ×3, first 2 shown]
	v_add_f64 v[4:5], v[4:5], -v[6:7]
	v_add_f64 v[55:56], v[6:7], -v[0:1]
	v_mul_f64 v[12:13], v[14:15], s[14:15]
	v_mul_f64 v[28:29], v[32:33], s[6:7]
	;; [unrolled: 1-line block ×5, first 2 shown]
	s_waitcnt lgkmcnt(0)
	v_add_f64 v[2:3], v[51:52], v[26:27]
	v_add_f64 v[0:1], v[49:50], v[39:40]
	v_add_f64 v[6:7], v[45:46], v[6:7]
	v_mul_f64 v[45:46], v[4:5], s[10:11]
	v_mul_f64 v[14:15], v[18:19], s[6:7]
	v_fma_f64 v[47:48], v[16:17], s[20:21], v[12:13]
	v_fma_f64 v[18:19], v[18:19], s[6:7], v[22:23]
	;; [unrolled: 1-line block ×4, first 2 shown]
	v_fma_f64 v[16:17], v[16:17], s[22:23], -v[43:44]
	v_fma_f64 v[22:23], v[37:38], s[18:19], -v[22:23]
	;; [unrolled: 1-line block ×4, first 2 shown]
	v_fma_f64 v[20:21], v[26:27], s[12:13], v[2:3]
	v_fma_f64 v[8:9], v[8:9], s[16:17], -v[28:29]
	v_fma_f64 v[28:29], v[39:40], s[12:13], v[0:1]
	v_fma_f64 v[43:44], v[55:56], s[22:23], -v[45:46]
	v_fma_f64 v[14:15], v[37:38], s[16:17], -v[14:15]
	;; [unrolled: 1-line block ×3, first 2 shown]
	v_fma_f64 v[26:27], v[10:11], s[24:25], v[47:48]
	v_fma_f64 v[37:38], v[6:7], s[24:25], v[49:50]
	;; [unrolled: 1-line block ×3, first 2 shown]
	v_add_f64 v[22:23], v[22:23], v[20:21]
	v_add_f64 v[41:42], v[18:19], v[20:21]
	;; [unrolled: 1-line block ×3, first 2 shown]
	v_fma_f64 v[39:40], v[6:7], s[24:25], v[43:44]
	v_add_f64 v[35:36], v[35:36], v[28:29]
	v_fma_f64 v[12:13], v[10:11], s[24:25], v[12:13]
	v_add_f64 v[14:15], v[14:15], v[20:21]
	;; [unrolled: 2-line block ×3, first 2 shown]
	v_add_f64 v[6:7], v[16:17], v[22:23]
	v_add_f64 v[18:19], v[22:23], -v[16:17]
	v_add_f64 v[22:23], v[41:42], -v[26:27]
	v_add_f64 v[20:21], v[37:38], v[32:33]
	global_store_dwordx4 v[53:54], v[0:3], off
	v_add_f64 v[16:17], v[39:40], v[35:36]
	v_add_f64 v[2:3], v[26:27], v[41:42]
	v_add_f64 v[0:1], v[32:33], -v[37:38]
	v_add_f64 v[10:11], v[14:15], -v[12:13]
	v_add_f64 v[14:15], v[12:13], v[14:15]
	v_add_f64 v[12:13], v[8:9], -v[4:5]
	v_add_f64 v[8:9], v[4:5], v[8:9]
	v_add_f64 v[4:5], v[35:36], -v[39:40]
	v_addc_co_u32_e32 v25, vcc, 0, v54, vcc
	v_add_co_u32_e32 v34, vcc, 0x4000, v53
	v_addc_co_u32_e32 v35, vcc, 0, v54, vcc
	global_store_dwordx4 v[53:54], v[20:23], off offset:3024
	global_store_dwordx4 v[57:58], v[16:19], off offset:1952
	;; [unrolled: 1-line block ×6, first 2 shown]
.LBB0_25:
	s_endpgm
	.section	.rodata,"a",@progbits
	.p2align	6, 0x0
	.amdhsa_kernel fft_rtc_back_len1323_factors_3_3_3_7_7_wgs_189_tpt_189_dp_ip_CI_unitstride_sbrr_dirReg
		.amdhsa_group_segment_fixed_size 0
		.amdhsa_private_segment_fixed_size 0
		.amdhsa_kernarg_size 88
		.amdhsa_user_sgpr_count 6
		.amdhsa_user_sgpr_private_segment_buffer 1
		.amdhsa_user_sgpr_dispatch_ptr 0
		.amdhsa_user_sgpr_queue_ptr 0
		.amdhsa_user_sgpr_kernarg_segment_ptr 1
		.amdhsa_user_sgpr_dispatch_id 0
		.amdhsa_user_sgpr_flat_scratch_init 0
		.amdhsa_user_sgpr_private_segment_size 0
		.amdhsa_uses_dynamic_stack 0
		.amdhsa_system_sgpr_private_segment_wavefront_offset 0
		.amdhsa_system_sgpr_workgroup_id_x 1
		.amdhsa_system_sgpr_workgroup_id_y 0
		.amdhsa_system_sgpr_workgroup_id_z 0
		.amdhsa_system_sgpr_workgroup_info 0
		.amdhsa_system_vgpr_workitem_id 0
		.amdhsa_next_free_vgpr 66
		.amdhsa_next_free_sgpr 28
		.amdhsa_reserve_vcc 1
		.amdhsa_reserve_flat_scratch 0
		.amdhsa_float_round_mode_32 0
		.amdhsa_float_round_mode_16_64 0
		.amdhsa_float_denorm_mode_32 3
		.amdhsa_float_denorm_mode_16_64 3
		.amdhsa_dx10_clamp 1
		.amdhsa_ieee_mode 1
		.amdhsa_fp16_overflow 0
		.amdhsa_exception_fp_ieee_invalid_op 0
		.amdhsa_exception_fp_denorm_src 0
		.amdhsa_exception_fp_ieee_div_zero 0
		.amdhsa_exception_fp_ieee_overflow 0
		.amdhsa_exception_fp_ieee_underflow 0
		.amdhsa_exception_fp_ieee_inexact 0
		.amdhsa_exception_int_div_zero 0
	.end_amdhsa_kernel
	.text
.Lfunc_end0:
	.size	fft_rtc_back_len1323_factors_3_3_3_7_7_wgs_189_tpt_189_dp_ip_CI_unitstride_sbrr_dirReg, .Lfunc_end0-fft_rtc_back_len1323_factors_3_3_3_7_7_wgs_189_tpt_189_dp_ip_CI_unitstride_sbrr_dirReg
                                        ; -- End function
	.section	.AMDGPU.csdata,"",@progbits
; Kernel info:
; codeLenInByte = 6136
; NumSgprs: 32
; NumVgprs: 66
; ScratchSize: 0
; MemoryBound: 1
; FloatMode: 240
; IeeeMode: 1
; LDSByteSize: 0 bytes/workgroup (compile time only)
; SGPRBlocks: 3
; VGPRBlocks: 16
; NumSGPRsForWavesPerEU: 32
; NumVGPRsForWavesPerEU: 66
; Occupancy: 3
; WaveLimiterHint : 1
; COMPUTE_PGM_RSRC2:SCRATCH_EN: 0
; COMPUTE_PGM_RSRC2:USER_SGPR: 6
; COMPUTE_PGM_RSRC2:TRAP_HANDLER: 0
; COMPUTE_PGM_RSRC2:TGID_X_EN: 1
; COMPUTE_PGM_RSRC2:TGID_Y_EN: 0
; COMPUTE_PGM_RSRC2:TGID_Z_EN: 0
; COMPUTE_PGM_RSRC2:TIDIG_COMP_CNT: 0
	.type	__hip_cuid_2b49b70e2ba1181a,@object ; @__hip_cuid_2b49b70e2ba1181a
	.section	.bss,"aw",@nobits
	.globl	__hip_cuid_2b49b70e2ba1181a
__hip_cuid_2b49b70e2ba1181a:
	.byte	0                               ; 0x0
	.size	__hip_cuid_2b49b70e2ba1181a, 1

	.ident	"AMD clang version 19.0.0git (https://github.com/RadeonOpenCompute/llvm-project roc-6.4.0 25133 c7fe45cf4b819c5991fe208aaa96edf142730f1d)"
	.section	".note.GNU-stack","",@progbits
	.addrsig
	.addrsig_sym __hip_cuid_2b49b70e2ba1181a
	.amdgpu_metadata
---
amdhsa.kernels:
  - .args:
      - .actual_access:  read_only
        .address_space:  global
        .offset:         0
        .size:           8
        .value_kind:     global_buffer
      - .offset:         8
        .size:           8
        .value_kind:     by_value
      - .actual_access:  read_only
        .address_space:  global
        .offset:         16
        .size:           8
        .value_kind:     global_buffer
      - .actual_access:  read_only
        .address_space:  global
        .offset:         24
        .size:           8
        .value_kind:     global_buffer
      - .offset:         32
        .size:           8
        .value_kind:     by_value
      - .actual_access:  read_only
        .address_space:  global
        .offset:         40
        .size:           8
        .value_kind:     global_buffer
      - .actual_access:  read_only
        .address_space:  global
        .offset:         48
        .size:           8
        .value_kind:     global_buffer
      - .offset:         56
        .size:           4
        .value_kind:     by_value
      - .actual_access:  read_only
        .address_space:  global
        .offset:         64
        .size:           8
        .value_kind:     global_buffer
      - .actual_access:  read_only
        .address_space:  global
        .offset:         72
        .size:           8
        .value_kind:     global_buffer
      - .address_space:  global
        .offset:         80
        .size:           8
        .value_kind:     global_buffer
    .group_segment_fixed_size: 0
    .kernarg_segment_align: 8
    .kernarg_segment_size: 88
    .language:       OpenCL C
    .language_version:
      - 2
      - 0
    .max_flat_workgroup_size: 189
    .name:           fft_rtc_back_len1323_factors_3_3_3_7_7_wgs_189_tpt_189_dp_ip_CI_unitstride_sbrr_dirReg
    .private_segment_fixed_size: 0
    .sgpr_count:     32
    .sgpr_spill_count: 0
    .symbol:         fft_rtc_back_len1323_factors_3_3_3_7_7_wgs_189_tpt_189_dp_ip_CI_unitstride_sbrr_dirReg.kd
    .uniform_work_group_size: 1
    .uses_dynamic_stack: false
    .vgpr_count:     66
    .vgpr_spill_count: 0
    .wavefront_size: 64
amdhsa.target:   amdgcn-amd-amdhsa--gfx906
amdhsa.version:
  - 1
  - 2
...

	.end_amdgpu_metadata
